;; amdgpu-corpus repo=ROCm/rocFFT kind=compiled arch=gfx1030 opt=O3
	.text
	.amdgcn_target "amdgcn-amd-amdhsa--gfx1030"
	.amdhsa_code_object_version 6
	.protected	fft_rtc_fwd_len1470_factors_2_3_5_7_7_wgs_210_tpt_210_halfLds_half_op_CI_CI_unitstride_sbrr_C2R_dirReg ; -- Begin function fft_rtc_fwd_len1470_factors_2_3_5_7_7_wgs_210_tpt_210_halfLds_half_op_CI_CI_unitstride_sbrr_C2R_dirReg
	.globl	fft_rtc_fwd_len1470_factors_2_3_5_7_7_wgs_210_tpt_210_halfLds_half_op_CI_CI_unitstride_sbrr_C2R_dirReg
	.p2align	8
	.type	fft_rtc_fwd_len1470_factors_2_3_5_7_7_wgs_210_tpt_210_halfLds_half_op_CI_CI_unitstride_sbrr_C2R_dirReg,@function
fft_rtc_fwd_len1470_factors_2_3_5_7_7_wgs_210_tpt_210_halfLds_half_op_CI_CI_unitstride_sbrr_C2R_dirReg: ; @fft_rtc_fwd_len1470_factors_2_3_5_7_7_wgs_210_tpt_210_halfLds_half_op_CI_CI_unitstride_sbrr_C2R_dirReg
; %bb.0:
	s_clause 0x2
	s_load_dwordx4 s[12:15], s[4:5], 0x0
	s_load_dwordx4 s[8:11], s[4:5], 0x58
	;; [unrolled: 1-line block ×3, first 2 shown]
	v_mul_u32_u24_e32 v1, 0x139, v0
	v_mov_b32_e32 v8, 0
	v_mov_b32_e32 v6, 0
	;; [unrolled: 1-line block ×3, first 2 shown]
	v_add_nc_u32_sdwa v10, s6, v1 dst_sel:DWORD dst_unused:UNUSED_PAD src0_sel:DWORD src1_sel:WORD_1
	v_mov_b32_e32 v11, v8
	s_waitcnt lgkmcnt(0)
	v_cmp_lt_u64_e64 s0, s[14:15], 2
	s_and_b32 vcc_lo, exec_lo, s0
	s_cbranch_vccnz .LBB0_8
; %bb.1:
	s_load_dwordx2 s[0:1], s[4:5], 0x10
	v_mov_b32_e32 v6, 0
	v_mov_b32_e32 v7, 0
	s_add_u32 s2, s18, 8
	s_addc_u32 s3, s19, 0
	v_mov_b32_e32 v1, v6
	s_add_u32 s6, s16, 8
	v_mov_b32_e32 v2, v7
	s_addc_u32 s7, s17, 0
	s_mov_b64 s[22:23], 1
	s_waitcnt lgkmcnt(0)
	s_add_u32 s20, s0, 8
	s_addc_u32 s21, s1, 0
.LBB0_2:                                ; =>This Inner Loop Header: Depth=1
	s_load_dwordx2 s[24:25], s[20:21], 0x0
                                        ; implicit-def: $vgpr3_vgpr4
	s_mov_b32 s0, exec_lo
	s_waitcnt lgkmcnt(0)
	v_or_b32_e32 v9, s25, v11
	v_cmpx_ne_u64_e32 0, v[8:9]
	s_xor_b32 s1, exec_lo, s0
	s_cbranch_execz .LBB0_4
; %bb.3:                                ;   in Loop: Header=BB0_2 Depth=1
	v_cvt_f32_u32_e32 v3, s24
	v_cvt_f32_u32_e32 v4, s25
	s_sub_u32 s0, 0, s24
	s_subb_u32 s26, 0, s25
	v_fmac_f32_e32 v3, 0x4f800000, v4
	v_rcp_f32_e32 v3, v3
	v_mul_f32_e32 v3, 0x5f7ffffc, v3
	v_mul_f32_e32 v4, 0x2f800000, v3
	v_trunc_f32_e32 v4, v4
	v_fmac_f32_e32 v3, 0xcf800000, v4
	v_cvt_u32_f32_e32 v4, v4
	v_cvt_u32_f32_e32 v3, v3
	v_mul_lo_u32 v5, s0, v4
	v_mul_hi_u32 v9, s0, v3
	v_mul_lo_u32 v12, s26, v3
	v_add_nc_u32_e32 v5, v9, v5
	v_mul_lo_u32 v9, s0, v3
	v_add_nc_u32_e32 v5, v5, v12
	v_mul_hi_u32 v12, v3, v9
	v_mul_lo_u32 v13, v3, v5
	v_mul_hi_u32 v14, v3, v5
	v_mul_hi_u32 v15, v4, v9
	v_mul_lo_u32 v9, v4, v9
	v_mul_hi_u32 v16, v4, v5
	v_mul_lo_u32 v5, v4, v5
	v_add_co_u32 v12, vcc_lo, v12, v13
	v_add_co_ci_u32_e32 v13, vcc_lo, 0, v14, vcc_lo
	v_add_co_u32 v9, vcc_lo, v12, v9
	v_add_co_ci_u32_e32 v9, vcc_lo, v13, v15, vcc_lo
	v_add_co_ci_u32_e32 v12, vcc_lo, 0, v16, vcc_lo
	v_add_co_u32 v5, vcc_lo, v9, v5
	v_add_co_ci_u32_e32 v9, vcc_lo, 0, v12, vcc_lo
	v_add_co_u32 v3, vcc_lo, v3, v5
	v_add_co_ci_u32_e32 v4, vcc_lo, v4, v9, vcc_lo
	v_mul_hi_u32 v5, s0, v3
	v_mul_lo_u32 v12, s26, v3
	v_mul_lo_u32 v9, s0, v4
	v_add_nc_u32_e32 v5, v5, v9
	v_mul_lo_u32 v9, s0, v3
	v_add_nc_u32_e32 v5, v5, v12
	v_mul_hi_u32 v12, v3, v9
	v_mul_lo_u32 v13, v3, v5
	v_mul_hi_u32 v14, v3, v5
	v_mul_hi_u32 v15, v4, v9
	v_mul_lo_u32 v9, v4, v9
	v_mul_hi_u32 v16, v4, v5
	v_mul_lo_u32 v5, v4, v5
	v_add_co_u32 v12, vcc_lo, v12, v13
	v_add_co_ci_u32_e32 v13, vcc_lo, 0, v14, vcc_lo
	v_add_co_u32 v9, vcc_lo, v12, v9
	v_add_co_ci_u32_e32 v9, vcc_lo, v13, v15, vcc_lo
	v_add_co_ci_u32_e32 v12, vcc_lo, 0, v16, vcc_lo
	v_add_co_u32 v5, vcc_lo, v9, v5
	v_add_co_ci_u32_e32 v9, vcc_lo, 0, v12, vcc_lo
	v_add_co_u32 v5, vcc_lo, v3, v5
	v_add_co_ci_u32_e32 v9, vcc_lo, v4, v9, vcc_lo
	v_mul_hi_u32 v16, v10, v5
	v_mad_u64_u32 v[12:13], null, v11, v5, 0
	v_mad_u64_u32 v[3:4], null, v10, v9, 0
	;; [unrolled: 1-line block ×3, first 2 shown]
	v_add_co_u32 v3, vcc_lo, v16, v3
	v_add_co_ci_u32_e32 v4, vcc_lo, 0, v4, vcc_lo
	v_add_co_u32 v3, vcc_lo, v3, v12
	v_add_co_ci_u32_e32 v3, vcc_lo, v4, v13, vcc_lo
	v_add_co_ci_u32_e32 v4, vcc_lo, 0, v15, vcc_lo
	v_add_co_u32 v5, vcc_lo, v3, v14
	v_add_co_ci_u32_e32 v9, vcc_lo, 0, v4, vcc_lo
	v_mul_lo_u32 v12, s25, v5
	v_mad_u64_u32 v[3:4], null, s24, v5, 0
	v_mul_lo_u32 v13, s24, v9
	v_sub_co_u32 v3, vcc_lo, v10, v3
	v_add3_u32 v4, v4, v13, v12
	v_sub_nc_u32_e32 v12, v11, v4
	v_subrev_co_ci_u32_e64 v12, s0, s25, v12, vcc_lo
	v_add_co_u32 v13, s0, v5, 2
	v_add_co_ci_u32_e64 v14, s0, 0, v9, s0
	v_sub_co_u32 v15, s0, v3, s24
	v_sub_co_ci_u32_e32 v4, vcc_lo, v11, v4, vcc_lo
	v_subrev_co_ci_u32_e64 v12, s0, 0, v12, s0
	v_cmp_le_u32_e32 vcc_lo, s24, v15
	v_cmp_eq_u32_e64 s0, s25, v4
	v_cndmask_b32_e64 v15, 0, -1, vcc_lo
	v_cmp_le_u32_e32 vcc_lo, s25, v12
	v_cndmask_b32_e64 v16, 0, -1, vcc_lo
	v_cmp_le_u32_e32 vcc_lo, s24, v3
	;; [unrolled: 2-line block ×3, first 2 shown]
	v_cndmask_b32_e64 v17, 0, -1, vcc_lo
	v_cmp_eq_u32_e32 vcc_lo, s25, v12
	v_cndmask_b32_e64 v3, v17, v3, s0
	v_cndmask_b32_e32 v12, v16, v15, vcc_lo
	v_add_co_u32 v15, vcc_lo, v5, 1
	v_add_co_ci_u32_e32 v16, vcc_lo, 0, v9, vcc_lo
	v_cmp_ne_u32_e32 vcc_lo, 0, v12
	v_cndmask_b32_e32 v4, v16, v14, vcc_lo
	v_cndmask_b32_e32 v12, v15, v13, vcc_lo
	v_cmp_ne_u32_e32 vcc_lo, 0, v3
	v_cndmask_b32_e32 v4, v9, v4, vcc_lo
	v_cndmask_b32_e32 v3, v5, v12, vcc_lo
.LBB0_4:                                ;   in Loop: Header=BB0_2 Depth=1
	s_andn2_saveexec_b32 s0, s1
	s_cbranch_execz .LBB0_6
; %bb.5:                                ;   in Loop: Header=BB0_2 Depth=1
	v_cvt_f32_u32_e32 v3, s24
	s_sub_i32 s1, 0, s24
	v_rcp_iflag_f32_e32 v3, v3
	v_mul_f32_e32 v3, 0x4f7ffffe, v3
	v_cvt_u32_f32_e32 v3, v3
	v_mul_lo_u32 v4, s1, v3
	v_mul_hi_u32 v4, v3, v4
	v_add_nc_u32_e32 v3, v3, v4
	v_mul_hi_u32 v3, v10, v3
	v_mul_lo_u32 v4, v3, s24
	v_add_nc_u32_e32 v5, 1, v3
	v_sub_nc_u32_e32 v4, v10, v4
	v_subrev_nc_u32_e32 v9, s24, v4
	v_cmp_le_u32_e32 vcc_lo, s24, v4
	v_cndmask_b32_e32 v4, v4, v9, vcc_lo
	v_cndmask_b32_e32 v3, v3, v5, vcc_lo
	v_cmp_le_u32_e32 vcc_lo, s24, v4
	v_add_nc_u32_e32 v5, 1, v3
	v_mov_b32_e32 v4, v8
	v_cndmask_b32_e32 v3, v3, v5, vcc_lo
.LBB0_6:                                ;   in Loop: Header=BB0_2 Depth=1
	s_or_b32 exec_lo, exec_lo, s0
	v_mul_lo_u32 v5, v4, s24
	v_mul_lo_u32 v9, v3, s25
	s_load_dwordx2 s[0:1], s[6:7], 0x0
	v_mad_u64_u32 v[12:13], null, v3, s24, 0
	s_load_dwordx2 s[24:25], s[2:3], 0x0
	s_add_u32 s22, s22, 1
	s_addc_u32 s23, s23, 0
	s_add_u32 s2, s2, 8
	s_addc_u32 s3, s3, 0
	s_add_u32 s6, s6, 8
	v_add3_u32 v5, v13, v9, v5
	v_sub_co_u32 v9, vcc_lo, v10, v12
	s_addc_u32 s7, s7, 0
	s_add_u32 s20, s20, 8
	v_sub_co_ci_u32_e32 v5, vcc_lo, v11, v5, vcc_lo
	s_addc_u32 s21, s21, 0
	s_waitcnt lgkmcnt(0)
	v_mul_lo_u32 v10, s0, v5
	v_mul_lo_u32 v11, s1, v9
	v_mad_u64_u32 v[6:7], null, s0, v9, v[6:7]
	v_mul_lo_u32 v5, s24, v5
	v_mul_lo_u32 v12, s25, v9
	v_mad_u64_u32 v[1:2], null, s24, v9, v[1:2]
	v_cmp_ge_u64_e64 s0, s[22:23], s[14:15]
	v_add3_u32 v7, v11, v7, v10
	v_add3_u32 v2, v12, v2, v5
	s_and_b32 vcc_lo, exec_lo, s0
	s_cbranch_vccnz .LBB0_9
; %bb.7:                                ;   in Loop: Header=BB0_2 Depth=1
	v_mov_b32_e32 v11, v4
	v_mov_b32_e32 v10, v3
	s_branch .LBB0_2
.LBB0_8:
	v_mov_b32_e32 v1, v6
	v_mov_b32_e32 v3, v10
	;; [unrolled: 1-line block ×4, first 2 shown]
.LBB0_9:
	s_load_dwordx2 s[0:1], s[4:5], 0x28
	v_mul_hi_u32 v8, 0x1381382, v0
	s_lshl_b64 s[4:5], s[14:15], 3
                                        ; implicit-def: $vgpr5
	s_add_u32 s2, s18, s4
	s_addc_u32 s3, s19, s5
	s_waitcnt lgkmcnt(0)
	v_cmp_gt_u64_e32 vcc_lo, s[0:1], v[3:4]
	v_cmp_le_u64_e64 s0, s[0:1], v[3:4]
	s_and_saveexec_b32 s1, s0
	s_xor_b32 s0, exec_lo, s1
; %bb.10:
	v_mul_u32_u24_e32 v5, 0xd2, v8
                                        ; implicit-def: $vgpr8
                                        ; implicit-def: $vgpr6_vgpr7
	v_sub_nc_u32_e32 v5, v0, v5
                                        ; implicit-def: $vgpr0
; %bb.11:
	s_or_saveexec_b32 s1, s0
	s_load_dwordx2 s[2:3], s[2:3], 0x0
	s_xor_b32 exec_lo, exec_lo, s1
	s_cbranch_execz .LBB0_15
; %bb.12:
	s_add_u32 s4, s16, s4
	s_addc_u32 s5, s17, s5
	v_lshlrev_b64 v[6:7], 2, v[6:7]
	s_load_dwordx2 s[4:5], s[4:5], 0x0
	s_waitcnt lgkmcnt(0)
	v_mul_lo_u32 v5, s5, v3
	v_mul_lo_u32 v11, s4, v4
	v_mad_u64_u32 v[9:10], null, s4, v3, 0
	s_mov_b32 s4, exec_lo
	v_add3_u32 v10, v10, v11, v5
	v_mul_u32_u24_e32 v5, 0xd2, v8
	v_lshlrev_b64 v[8:9], 2, v[9:10]
	v_sub_nc_u32_e32 v5, v0, v5
	v_lshlrev_b32_e32 v13, 2, v5
	v_add_co_u32 v0, s0, s8, v8
	v_add_co_ci_u32_e64 v8, s0, s9, v9, s0
	v_add_co_u32 v0, s0, v0, v6
	v_add_co_ci_u32_e64 v6, s0, v8, v7, s0
	;; [unrolled: 2-line block ×5, first 2 shown]
	s_clause 0x6
	global_load_dword v14, v[7:8], off
	global_load_dword v15, v[7:8], off offset:840
	global_load_dword v7, v[7:8], off offset:1680
	;; [unrolled: 1-line block ×6, first 2 shown]
	v_add_nc_u32_e32 v12, 0, v13
	v_add_nc_u32_e32 v13, 0x600, v12
	;; [unrolled: 1-line block ×3, first 2 shown]
	s_waitcnt vmcnt(5)
	ds_write2_b32 v12, v14, v15 offset1:210
	s_waitcnt vmcnt(3)
	ds_write2_b32 v13, v7, v8 offset0:36 offset1:246
	s_waitcnt vmcnt(1)
	ds_write2_b32 v16, v9, v10 offset0:8 offset1:218
	s_waitcnt vmcnt(0)
	ds_write_b32 v12, v11 offset:5040
	v_cmpx_eq_u32_e32 0xd1, v5
	s_cbranch_execz .LBB0_14
; %bb.13:
	v_add_co_u32 v5, s0, 0x1000, v0
	v_add_co_ci_u32_e64 v6, s0, 0, v6, s0
	global_load_dword v0, v[5:6], off offset:1784
	v_mov_b32_e32 v6, 0
	v_mov_b32_e32 v5, 0xd1
	s_waitcnt vmcnt(0)
	ds_write_b32 v6, v0 offset:5880
.LBB0_14:
	s_or_b32 exec_lo, exec_lo, s4
.LBB0_15:
	s_or_b32 exec_lo, exec_lo, s1
	v_lshlrev_b32_e32 v6, 2, v5
	s_waitcnt lgkmcnt(0)
	s_barrier
	buffer_gl0_inv
	s_add_u32 s1, s12, 0x16f0
	v_add_nc_u32_e32 v0, 0, v6
	v_sub_nc_u32_e32 v8, 0, v6
	s_addc_u32 s4, s13, 0
	s_mov_b32 s5, exec_lo
                                        ; implicit-def: $vgpr6_vgpr7
	ds_read_u16 v11, v0
	ds_read_u16 v12, v8 offset:5880
	s_waitcnt lgkmcnt(0)
	v_add_f16_e32 v10, v12, v11
	v_sub_f16_e32 v9, v11, v12
	v_cmpx_ne_u32_e32 0, v5
	s_xor_b32 s5, exec_lo, s5
	s_cbranch_execz .LBB0_17
; %bb.16:
	v_mov_b32_e32 v6, 0
	v_add_f16_e32 v13, v12, v11
	v_sub_f16_e32 v11, v11, v12
	v_lshlrev_b64 v[9:10], 2, v[5:6]
	v_add_co_u32 v9, s0, s1, v9
	v_add_co_ci_u32_e64 v10, s0, s4, v10, s0
	global_load_dword v7, v[9:10], off
	ds_read_u16 v9, v8 offset:5882
	ds_read_u16 v10, v0 offset:2
	s_waitcnt lgkmcnt(0)
	v_add_f16_e32 v12, v9, v10
	v_sub_f16_e32 v9, v10, v9
	s_waitcnt vmcnt(0)
	v_lshrrev_b32_e32 v14, 16, v7
	v_fma_f16 v15, -v11, v14, v13
	v_fma_f16 v16, v12, v14, -v9
	v_fma_f16 v9, v12, v14, v9
	v_fma_f16 v10, v11, v14, v13
	v_fmac_f16_e32 v15, v7, v12
	v_fmac_f16_e32 v16, v11, v7
	;; [unrolled: 1-line block ×3, first 2 shown]
	v_fma_f16 v10, -v7, v12, v10
	v_mov_b32_e32 v7, v6
	v_mov_b32_e32 v6, v5
	v_pack_b32_f16 v11, v15, v16
	ds_write_b32 v8, v11 offset:5880
.LBB0_17:
	s_andn2_saveexec_b32 s0, s5
	s_cbranch_execz .LBB0_19
; %bb.18:
	v_mov_b32_e32 v11, 0
	ds_read_b32 v6, v11 offset:2940
	s_waitcnt lgkmcnt(0)
	v_pk_mul_f16 v12, 0xc0004000, v6
	v_mov_b32_e32 v6, 0
	v_mov_b32_e32 v7, 0
	ds_write_b32 v11, v12 offset:2940
.LBB0_19:
	s_or_b32 exec_lo, exec_lo, s0
	v_lshlrev_b64 v[6:7], 2, v[6:7]
	v_perm_b32 v9, v9, v10, 0x5040100
	v_add_co_u32 v6, s0, s1, v6
	v_add_co_ci_u32_e64 v7, s0, s4, v7, s0
	v_cmp_gt_u32_e64 s0, 0x69, v5
	s_clause 0x1
	global_load_dword v11, v[6:7], off offset:840
	global_load_dword v12, v[6:7], off offset:1680
	ds_write_b32 v0, v9
	ds_read_b32 v9, v0 offset:840
	ds_read_b32 v10, v8 offset:5040
	s_waitcnt lgkmcnt(0)
	v_add_f16_e32 v13, v9, v10
	v_add_f16_sdwa v14, v10, v9 dst_sel:DWORD dst_unused:UNUSED_PAD src0_sel:WORD_1 src1_sel:WORD_1
	v_sub_f16_e32 v15, v9, v10
	v_sub_f16_sdwa v9, v9, v10 dst_sel:DWORD dst_unused:UNUSED_PAD src0_sel:WORD_1 src1_sel:WORD_1
	s_waitcnt vmcnt(1)
	v_lshrrev_b32_e32 v16, 16, v11
	v_fma_f16 v10, v15, v16, v13
	v_fma_f16 v17, v14, v16, v9
	v_fma_f16 v13, -v15, v16, v13
	v_fma_f16 v9, v14, v16, -v9
	v_fma_f16 v10, -v11, v14, v10
	v_fmac_f16_e32 v17, v15, v11
	v_fmac_f16_e32 v13, v11, v14
	;; [unrolled: 1-line block ×3, first 2 shown]
	s_waitcnt vmcnt(0)
	v_lshrrev_b32_e32 v11, 16, v12
	v_pack_b32_f16 v10, v10, v17
	v_pack_b32_f16 v9, v13, v9
	ds_write_b32 v0, v10 offset:840
	ds_write_b32 v8, v9 offset:5040
	ds_read_b32 v9, v0 offset:1680
	ds_read_b32 v10, v8 offset:4200
	s_waitcnt lgkmcnt(0)
	v_add_f16_e32 v13, v9, v10
	v_add_f16_sdwa v14, v10, v9 dst_sel:DWORD dst_unused:UNUSED_PAD src0_sel:WORD_1 src1_sel:WORD_1
	v_sub_f16_e32 v15, v9, v10
	v_sub_f16_sdwa v9, v9, v10 dst_sel:DWORD dst_unused:UNUSED_PAD src0_sel:WORD_1 src1_sel:WORD_1
	v_fma_f16 v10, v15, v11, v13
	v_fma_f16 v16, v14, v11, v9
	v_fma_f16 v13, -v15, v11, v13
	v_fma_f16 v9, v14, v11, -v9
	v_fma_f16 v10, -v12, v14, v10
	v_fmac_f16_e32 v16, v15, v12
	v_fmac_f16_e32 v13, v12, v14
	;; [unrolled: 1-line block ×3, first 2 shown]
	v_pack_b32_f16 v10, v10, v16
	v_pack_b32_f16 v9, v13, v9
	ds_write_b32 v0, v10 offset:1680
	ds_write_b32 v8, v9 offset:4200
	s_and_saveexec_b32 s4, s0
	s_cbranch_execz .LBB0_21
; %bb.20:
	v_add_co_u32 v6, s1, 0x800, v6
	v_add_co_ci_u32_e64 v7, s1, 0, v7, s1
	global_load_dword v6, v[6:7], off offset:472
	ds_read_b32 v7, v0 offset:2520
	ds_read_b32 v9, v8 offset:3360
	s_waitcnt lgkmcnt(0)
	v_add_f16_e32 v10, v7, v9
	v_add_f16_sdwa v11, v9, v7 dst_sel:DWORD dst_unused:UNUSED_PAD src0_sel:WORD_1 src1_sel:WORD_1
	v_sub_f16_e32 v12, v7, v9
	v_sub_f16_sdwa v7, v7, v9 dst_sel:DWORD dst_unused:UNUSED_PAD src0_sel:WORD_1 src1_sel:WORD_1
	s_waitcnt vmcnt(0)
	v_lshrrev_b32_e32 v13, 16, v6
	v_fma_f16 v9, v12, v13, v10
	v_fma_f16 v14, v11, v13, v7
	v_fma_f16 v10, -v12, v13, v10
	v_fma_f16 v7, v11, v13, -v7
	v_fma_f16 v9, -v6, v11, v9
	v_fmac_f16_e32 v14, v12, v6
	v_fmac_f16_e32 v10, v6, v11
	;; [unrolled: 1-line block ×3, first 2 shown]
	v_pack_b32_f16 v6, v9, v14
	v_pack_b32_f16 v7, v10, v7
	ds_write_b32 v0, v6 offset:2520
	ds_write_b32 v8, v7 offset:3360
.LBB0_21:
	s_or_b32 exec_lo, exec_lo, s4
	v_add_nc_u32_e32 v8, 0xb00, v0
	v_add_nc_u32_e32 v10, 0x600, v0
	;; [unrolled: 1-line block ×3, first 2 shown]
	s_waitcnt lgkmcnt(0)
	s_barrier
	buffer_gl0_inv
	s_barrier
	buffer_gl0_inv
	ds_read2_b32 v[6:7], v0 offset1:210
	ds_read2_b32 v[8:9], v8 offset0:31 offset1:241
	ds_read2_b32 v[10:11], v10 offset0:36 offset1:246
	;; [unrolled: 1-line block ×3, first 2 shown]
	v_add_nc_u32_e32 v13, 0xd2, v5
	v_add_nc_u32_e32 v15, 0x1a4, v5
	v_lshl_add_u32 v12, v5, 2, v0
	s_waitcnt lgkmcnt(0)
	s_barrier
	v_lshl_add_u32 v14, v13, 3, 0
	v_lshl_add_u32 v18, v15, 3, 0
	buffer_gl0_inv
	v_pk_add_f16 v8, v6, v8 neg_lo:[0,1] neg_hi:[0,1]
	v_pk_add_f16 v9, v7, v9 neg_lo:[0,1] neg_hi:[0,1]
	;; [unrolled: 1-line block ×4, first 2 shown]
	v_pk_fma_f16 v6, v6, 2.0, v8 op_sel_hi:[1,0,1] neg_lo:[0,0,1] neg_hi:[0,0,1]
	v_pk_fma_f16 v7, v7, 2.0, v9 op_sel_hi:[1,0,1] neg_lo:[0,0,1] neg_hi:[0,0,1]
	v_pk_fma_f16 v16, v11, 2.0, v17 op_sel_hi:[1,0,1] neg_lo:[0,0,1] neg_hi:[0,0,1]
	v_pk_fma_f16 v10, v10, 2.0, v19 op_sel_hi:[1,0,1] neg_lo:[0,0,1] neg_hi:[0,0,1]
	ds_write2_b32 v12, v6, v8 offset1:1
	ds_write2_b32 v14, v7, v9 offset1:1
	;; [unrolled: 1-line block ×3, first 2 shown]
	s_and_saveexec_b32 s1, s0
	s_cbranch_execz .LBB0_23
; %bb.22:
	v_lshlrev_b32_e32 v6, 3, v5
	v_add3_u32 v6, v6, 0, 0x13b0
	ds_write2_b32 v6, v16, v17 offset1:1
.LBB0_23:
	s_or_b32 exec_lo, exec_lo, s1
	v_add_nc_u32_e32 v8, 0x700, v0
	v_add_nc_u32_e32 v9, 0xf00, v0
	s_waitcnt lgkmcnt(0)
	s_barrier
	buffer_gl0_inv
	ds_read2_b32 v[6:7], v0 offset1:210
	ds_read2_b32 v[10:11], v8 offset0:42 offset1:252
	ds_read2_b32 v[8:9], v9 offset0:20 offset1:230
	ds_read_u16 v12, v0 offset:842
	v_cmp_gt_u32_e64 s0, 0x46, v5
	v_lshrrev_b32_e32 v20, 16, v17
                                        ; implicit-def: $vgpr21
                                        ; implicit-def: $vgpr19
	s_and_saveexec_b32 s1, s0
	s_cbranch_execz .LBB0_25
; %bb.24:
	ds_read_b32 v17, v0 offset:3640
	ds_read_b32 v19, v0 offset:5600
	;; [unrolled: 1-line block ×3, first 2 shown]
	s_waitcnt lgkmcnt(2)
	v_lshrrev_b32_e32 v20, 16, v17
	s_waitcnt lgkmcnt(1)
	v_lshrrev_b32_e32 v21, 16, v19
.LBB0_25:
	s_or_b32 exec_lo, exec_lo, s1
	v_and_b32_e32 v18, 1, v5
	s_waitcnt lgkmcnt(2)
	v_lshrrev_b32_e32 v25, 16, v10
	s_waitcnt lgkmcnt(1)
	v_lshrrev_b32_e32 v26, 16, v8
	v_lshrrev_b32_e32 v27, 16, v11
	;; [unrolled: 1-line block ×3, first 2 shown]
	v_lshlrev_b32_e32 v14, 3, v18
	v_lshrrev_b32_e32 v30, 16, v6
	v_lshrrev_b32_e32 v24, 1, v13
	global_load_dwordx2 v[22:23], v14, s[12:13]
	v_lshrrev_b32_e32 v14, 1, v5
	v_mul_u32_u24_e32 v24, 6, v24
	s_waitcnt vmcnt(0) lgkmcnt(0)
	s_barrier
	buffer_gl0_inv
	v_mul_u32_u24_e32 v28, 6, v14
	v_lshrrev_b32_e32 v14, 16, v16
	v_or_b32_e32 v24, v24, v18
	v_or_b32_e32 v28, v28, v18
	v_lshl_add_u32 v24, v24, 2, 0
	v_lshl_add_u32 v28, v28, 2, 0
	v_mul_f16_sdwa v31, v22, v25 dst_sel:DWORD dst_unused:UNUSED_PAD src0_sel:WORD_1 src1_sel:DWORD
	v_mul_f16_sdwa v32, v22, v10 dst_sel:DWORD dst_unused:UNUSED_PAD src0_sel:WORD_1 src1_sel:DWORD
	;; [unrolled: 1-line block ×8, first 2 shown]
	v_mul_f16_sdwa v39, v20, v22 dst_sel:DWORD dst_unused:UNUSED_PAD src0_sel:DWORD src1_sel:WORD_1
	v_mul_f16_sdwa v40, v17, v22 dst_sel:DWORD dst_unused:UNUSED_PAD src0_sel:DWORD src1_sel:WORD_1
	;; [unrolled: 1-line block ×4, first 2 shown]
	v_fma_f16 v10, v22, v10, -v31
	v_fmac_f16_e32 v32, v22, v25
	v_fma_f16 v8, v23, v8, -v33
	v_fmac_f16_e32 v34, v23, v26
	v_fma_f16 v11, v22, v11, -v35
	v_fmac_f16_e32 v36, v22, v27
	v_fma_f16 v9, v23, v9, -v37
	v_fmac_f16_e32 v38, v23, v29
	v_fma_f16 v17, v17, v22, -v39
	v_fmac_f16_e32 v40, v20, v22
	v_fma_f16 v19, v19, v23, -v41
	v_fmac_f16_e32 v42, v21, v23
	v_add_f16_e32 v20, v10, v6
	v_add_f16_e32 v21, v10, v8
	;; [unrolled: 1-line block ×3, first 2 shown]
	v_sub_f16_e32 v22, v32, v34
	v_add_f16_e32 v23, v32, v30
	v_add_f16_e32 v27, v11, v9
	;; [unrolled: 1-line block ×3, first 2 shown]
	v_sub_f16_e32 v10, v10, v8
	v_add_f16_e32 v26, v11, v7
	v_sub_f16_e32 v33, v11, v9
	v_add_f16_e32 v11, v16, v17
	v_add_f16_e32 v35, v17, v19
	;; [unrolled: 1-line block ×4, first 2 shown]
	v_fma_f16 v20, -0.5, v21, v6
	v_fmac_f16_e32 v30, -0.5, v25
	v_sub_f16_e32 v29, v36, v38
	v_add_f16_e32 v31, v12, v36
	v_fmac_f16_e32 v7, -0.5, v27
	v_fmac_f16_e32 v12, -0.5, v32
	v_sub_f16_e32 v36, v40, v42
	v_add_f16_e32 v37, v14, v40
	v_sub_f16_e32 v17, v17, v19
	v_add_f16_e32 v21, v23, v34
	v_add_f16_e32 v23, v26, v9
	;; [unrolled: 1-line block ×3, first 2 shown]
	v_fma_f16 v9, -0.5, v35, v16
	v_fmac_f16_e32 v14, -0.5, v39
	v_fmamk_f16 v19, v22, 0x3aee, v20
	v_fmac_f16_e32 v20, 0xbaee, v22
	v_fmamk_f16 v22, v10, 0xbaee, v30
	v_fmac_f16_e32 v30, 0x3aee, v10
	v_add_f16_e32 v25, v31, v38
	v_fmamk_f16 v26, v29, 0x3aee, v7
	v_fmamk_f16 v27, v33, 0xbaee, v12
	v_fmac_f16_e32 v7, 0xbaee, v29
	v_fmac_f16_e32 v12, 0x3aee, v33
	v_add_f16_e32 v11, v37, v42
	v_fmamk_f16 v10, v36, 0x3aee, v9
	v_fmac_f16_e32 v9, 0xbaee, v36
	v_fmamk_f16 v16, v17, 0xbaee, v14
	v_pack_b32_f16 v8, v8, v21
	v_pack_b32_f16 v19, v19, v22
	v_fmac_f16_e32 v14, 0x3aee, v17
	v_pack_b32_f16 v20, v20, v30
	v_pack_b32_f16 v21, v23, v25
	;; [unrolled: 1-line block ×4, first 2 shown]
	ds_write2_b32 v28, v8, v19 offset1:2
	ds_write_b32 v28, v20 offset:16
	ds_write2_b32 v24, v21, v22 offset1:2
	ds_write_b32 v24, v23 offset:16
	s_and_saveexec_b32 s1, s0
	s_cbranch_execz .LBB0_27
; %bb.26:
	v_lshrrev_b32_e32 v8, 1, v15
	v_perm_b32 v15, v11, v6, 0x5040100
	v_perm_b32 v17, v16, v10, 0x5040100
	v_mul_u32_u24_e32 v8, 6, v8
	v_or_b32_e32 v8, v8, v18
	v_perm_b32 v18, v14, v9, 0x5040100
	v_lshl_add_u32 v8, v8, 2, 0
	ds_write2_b32 v8, v15, v17 offset1:2
	ds_write_b32 v8, v18 offset:16
.LBB0_27:
	s_or_b32 exec_lo, exec_lo, s1
	s_waitcnt lgkmcnt(0)
	s_barrier
	buffer_gl0_inv
	ds_read_b32 v19, v0
	ds_read_b32 v24, v0 offset:1176
	ds_read_b32 v23, v0 offset:2352
	;; [unrolled: 1-line block ×4, first 2 shown]
	v_cmp_gt_u32_e64 s0, 0x54, v5
                                        ; implicit-def: $vgpr18
                                        ; implicit-def: $vgpr17
	s_and_saveexec_b32 s1, s0
	s_cbranch_execz .LBB0_29
; %bb.28:
	ds_read_b32 v7, v0 offset:840
	ds_read_b32 v17, v0 offset:5544
	ds_read_b32 v6, v0 offset:2016
	ds_read_b32 v10, v0 offset:3192
	ds_read_b32 v9, v0 offset:4368
	s_waitcnt lgkmcnt(4)
	v_lshrrev_b32_e32 v12, 16, v7
	s_waitcnt lgkmcnt(3)
	v_lshrrev_b32_e32 v18, 16, v17
	;; [unrolled: 2-line block ×5, first 2 shown]
.LBB0_29:
	s_or_b32 exec_lo, exec_lo, s1
	v_and_b32_e32 v15, 0xff, v5
	v_mov_b32_e32 v20, 4
	v_mov_b32_e32 v31, 0x78
	s_waitcnt lgkmcnt(3)
	v_lshrrev_b32_e32 v33, 16, v24
	s_waitcnt lgkmcnt(1)
	v_lshrrev_b32_e32 v34, 16, v22
	v_mul_lo_u16 v8, 0xab, v15
	s_waitcnt lgkmcnt(0)
	v_lshrrev_b32_e32 v35, 16, v21
	v_lshrrev_b32_e32 v32, 16, v19
	v_lshrrev_b16 v29, 10, v8
	v_mul_lo_u16 v8, v29, 6
	v_mul_u32_u24_sdwa v29, v29, v31 dst_sel:DWORD dst_unused:UNUSED_PAD src0_sel:WORD_0 src1_sel:DWORD
	v_lshrrev_b32_e32 v31, 16, v23
	v_sub_nc_u16 v30, v5, v8
	v_lshlrev_b32_sdwa v8, v20, v30 dst_sel:DWORD dst_unused:UNUSED_PAD src0_sel:DWORD src1_sel:BYTE_0
	global_load_dwordx4 v[25:28], v8, s[12:13] offset:16
	v_mov_b32_e32 v8, 2
	s_waitcnt vmcnt(0)
	s_barrier
	buffer_gl0_inv
	v_lshlrev_b32_sdwa v30, v8, v30 dst_sel:DWORD dst_unused:UNUSED_PAD src0_sel:DWORD src1_sel:BYTE_0
	v_add3_u32 v29, 0, v29, v30
	v_mul_f16_sdwa v30, v25, v33 dst_sel:DWORD dst_unused:UNUSED_PAD src0_sel:WORD_1 src1_sel:DWORD
	v_mul_f16_sdwa v37, v26, v31 dst_sel:DWORD dst_unused:UNUSED_PAD src0_sel:WORD_1 src1_sel:DWORD
	;; [unrolled: 1-line block ×8, first 2 shown]
	v_fma_f16 v24, v25, v24, -v30
	v_fma_f16 v23, v26, v23, -v37
	v_fmac_f16_e32 v38, v26, v31
	v_fma_f16 v22, v27, v22, -v39
	v_fmac_f16_e32 v40, v27, v34
	;; [unrolled: 2-line block ×3, first 2 shown]
	v_fmac_f16_e32 v42, v28, v35
	v_add_f16_e32 v25, v19, v24
	v_add_f16_e32 v26, v23, v22
	;; [unrolled: 1-line block ×5, first 2 shown]
	v_sub_f16_e32 v27, v36, v42
	v_sub_f16_e32 v30, v24, v23
	;; [unrolled: 1-line block ×4, first 2 shown]
	v_add_f16_e32 v37, v32, v36
	v_sub_f16_e32 v24, v24, v21
	v_sub_f16_e32 v41, v23, v22
	v_add_f16_e32 v23, v25, v23
	v_fma_f16 v25, -0.5, v26, v19
	v_fmac_f16_e32 v19, -0.5, v33
	v_fma_f16 v33, -0.5, v39, v32
	v_sub_f16_e32 v28, v38, v40
	v_sub_f16_e32 v35, v22, v21
	;; [unrolled: 1-line block ×5, first 2 shown]
	v_fmac_f16_e32 v32, -0.5, v45
	v_sub_f16_e32 v44, v42, v40
	v_add_f16_e32 v26, v30, v31
	v_add_f16_e32 v31, v37, v38
	;; [unrolled: 1-line block ×3, first 2 shown]
	v_fmamk_f16 v23, v27, 0x3b9c, v25
	v_fmamk_f16 v37, v24, 0xbb9c, v33
	v_add_f16_e32 v30, v34, v35
	v_add_f16_e32 v35, v36, v46
	v_fmamk_f16 v36, v28, 0xbb9c, v19
	v_fmac_f16_e32 v19, 0x3b9c, v28
	v_fmamk_f16 v38, v41, 0x3b9c, v32
	v_fmac_f16_e32 v32, 0xbb9c, v41
	v_fmac_f16_e32 v25, 0xbb9c, v27
	;; [unrolled: 1-line block ×3, first 2 shown]
	v_add_f16_e32 v34, v43, v44
	v_add_f16_e32 v31, v31, v40
	v_fmac_f16_e32 v23, 0x38b4, v28
	v_fmac_f16_e32 v37, 0xb8b4, v41
	;; [unrolled: 1-line block ×8, first 2 shown]
	v_add_f16_e32 v21, v22, v21
	v_add_f16_e32 v22, v31, v42
	v_fmac_f16_e32 v23, 0x34f2, v26
	v_fmac_f16_e32 v37, 0x34f2, v34
	;; [unrolled: 1-line block ×8, first 2 shown]
	v_pack_b32_f16 v21, v21, v22
	v_pack_b32_f16 v22, v23, v37
	;; [unrolled: 1-line block ×5, first 2 shown]
	ds_write2_b32 v29, v21, v22 offset1:6
	ds_write2_b32 v29, v23, v19 offset0:12 offset1:18
	ds_write_b32 v29, v24 offset:96
	s_and_saveexec_b32 s1, s0
	s_cbranch_execz .LBB0_31
; %bb.30:
	v_mov_b32_e32 v19, 0xaaab
	v_mul_u32_u24_sdwa v19, v13, v19 dst_sel:DWORD dst_unused:UNUSED_PAD src0_sel:WORD_0 src1_sel:DWORD
	v_lshrrev_b32_e32 v23, 18, v19
	v_mul_lo_u16 v19, v23, 6
	v_mul_lo_u16 v23, v23, 30
	v_sub_nc_u16 v13, v13, v19
	v_lshlrev_b32_sdwa v23, v8, v23 dst_sel:DWORD dst_unused:UNUSED_PAD src0_sel:DWORD src1_sel:WORD_0
	v_lshlrev_b32_sdwa v19, v20, v13 dst_sel:DWORD dst_unused:UNUSED_PAD src0_sel:DWORD src1_sel:WORD_0
	;; [unrolled: 1-line block ×3, first 2 shown]
	global_load_dwordx4 v[19:22], v19, s[12:13] offset:16
	v_add3_u32 v13, 0, v13, v23
	s_waitcnt vmcnt(0)
	v_mul_f16_sdwa v23, v10, v20 dst_sel:DWORD dst_unused:UNUSED_PAD src0_sel:DWORD src1_sel:WORD_1
	v_mul_f16_sdwa v24, v6, v19 dst_sel:DWORD dst_unused:UNUSED_PAD src0_sel:DWORD src1_sel:WORD_1
	;; [unrolled: 1-line block ×8, first 2 shown]
	v_fmac_f16_e32 v23, v16, v20
	v_fmac_f16_e32 v24, v11, v19
	;; [unrolled: 1-line block ×4, first 2 shown]
	v_fma_f16 v10, v10, v20, -v27
	v_fma_f16 v9, v9, v21, -v28
	;; [unrolled: 1-line block ×4, first 2 shown]
	v_sub_f16_e32 v14, v23, v24
	v_sub_f16_e32 v16, v25, v26
	v_add_f16_e32 v18, v24, v26
	v_sub_f16_e32 v20, v10, v6
	v_sub_f16_e32 v21, v9, v11
	v_add_f16_e32 v27, v6, v11
	v_add_f16_e32 v31, v23, v25
	;; [unrolled: 1-line block ×3, first 2 shown]
	v_sub_f16_e32 v19, v6, v11
	v_sub_f16_e32 v22, v24, v26
	;; [unrolled: 1-line block ×5, first 2 shown]
	v_add_f16_e32 v24, v12, v24
	v_add_f16_e32 v6, v7, v6
	;; [unrolled: 1-line block ×3, first 2 shown]
	v_fma_f16 v16, -0.5, v18, v12
	v_add_f16_e32 v18, v20, v21
	v_fma_f16 v20, -0.5, v27, v7
	v_fma_f16 v12, -0.5, v31, v12
	v_fma_f16 v7, -0.5, v34, v7
	v_sub_f16_e32 v17, v10, v9
	v_sub_f16_e32 v28, v23, v25
	;; [unrolled: 1-line block ×3, first 2 shown]
	v_add_f16_e32 v21, v29, v30
	v_add_f16_e32 v23, v24, v23
	;; [unrolled: 1-line block ×3, first 2 shown]
	v_fmamk_f16 v29, v19, 0xbb9c, v12
	v_fmamk_f16 v30, v22, 0x3b9c, v7
	v_fmamk_f16 v10, v17, 0x3b9c, v16
	v_fmamk_f16 v24, v28, 0xbb9c, v20
	v_fmac_f16_e32 v16, 0xbb9c, v17
	v_fmac_f16_e32 v20, 0x3b9c, v28
	;; [unrolled: 1-line block ×4, first 2 shown]
	v_add_f16_e32 v27, v32, v33
	v_add_f16_e32 v23, v23, v25
	;; [unrolled: 1-line block ×3, first 2 shown]
	v_fmac_f16_e32 v29, 0xb8b4, v17
	v_fmac_f16_e32 v30, 0x38b4, v28
	;; [unrolled: 1-line block ×8, first 2 shown]
	v_add_f16_e32 v9, v23, v26
	v_add_f16_e32 v6, v6, v11
	v_fmac_f16_e32 v29, 0x34f2, v21
	v_fmac_f16_e32 v30, 0x34f2, v27
	v_fmac_f16_e32 v10, 0x34f2, v14
	v_fmac_f16_e32 v24, 0x34f2, v18
	v_fmac_f16_e32 v16, 0x34f2, v14
	v_fmac_f16_e32 v20, 0x34f2, v18
	v_fmac_f16_e32 v12, 0x34f2, v21
	v_fmac_f16_e32 v7, 0x34f2, v27
	v_pack_b32_f16 v6, v6, v9
	v_pack_b32_f16 v9, v30, v29
	;; [unrolled: 1-line block ×5, first 2 shown]
	ds_write2_b32 v13, v6, v9 offset1:6
	ds_write2_b32 v13, v10, v11 offset0:12 offset1:18
	ds_write_b32 v13, v7 offset:96
.LBB0_31:
	s_or_b32 exec_lo, exec_lo, s1
	v_mul_lo_u16 v6, 0x89, v15
	v_mov_b32_e32 v7, 6
	s_waitcnt lgkmcnt(0)
	s_barrier
	buffer_gl0_inv
	v_lshrrev_b16 v21, 12, v6
	v_mov_b32_e32 v25, 0x348
	v_mul_u32_u24_e32 v24, 6, v5
	v_mul_lo_u16 v6, v21, 30
	v_mul_u32_u24_sdwa v21, v21, v25 dst_sel:DWORD dst_unused:UNUSED_PAD src0_sel:WORD_0 src1_sel:DWORD
	v_lshlrev_b32_e32 v24, 2, v24
	v_sub_nc_u16 v22, v5, v6
	v_mul_u32_u24_sdwa v6, v22, v7 dst_sel:DWORD dst_unused:UNUSED_PAD src0_sel:BYTE_0 src1_sel:DWORD
	v_add_nc_u32_e32 v7, 0xd00, v0
	v_lshlrev_b32_sdwa v8, v8, v22 dst_sel:DWORD dst_unused:UNUSED_PAD src0_sel:DWORD src1_sel:BYTE_0
	v_lshlrev_b32_e32 v6, 2, v6
	s_clause 0x1
	global_load_dwordx4 v[9:12], v6, s[12:13] offset:112
	global_load_dwordx2 v[13:14], v6, s[12:13] offset:128
	v_add_nc_u32_e32 v6, 0x600, v0
	ds_read2_b32 v[15:16], v0 offset1:210
	v_add3_u32 v8, 0, v21, v8
	ds_read_b32 v23, v0 offset:5040
	ds_read2_b32 v[17:18], v6 offset0:36 offset1:246
	ds_read2_b32 v[19:20], v7 offset0:8 offset1:218
	s_waitcnt vmcnt(0) lgkmcnt(0)
	s_barrier
	buffer_gl0_inv
	v_lshrrev_b32_e32 v25, 16, v16
	v_lshrrev_b32_e32 v26, 16, v23
	v_lshrrev_b32_e32 v22, 16, v17
	v_lshrrev_b32_e32 v27, 16, v18
	v_lshrrev_b32_e32 v28, 16, v19
	v_lshrrev_b32_e32 v29, 16, v20
	v_mul_f16_sdwa v21, v9, v25 dst_sel:DWORD dst_unused:UNUSED_PAD src0_sel:WORD_1 src1_sel:DWORD
	v_mul_f16_sdwa v30, v9, v16 dst_sel:DWORD dst_unused:UNUSED_PAD src0_sel:WORD_1 src1_sel:DWORD
	;; [unrolled: 1-line block ×12, first 2 shown]
	v_fma_f16 v16, v9, v16, -v21
	v_fmac_f16_e32 v30, v9, v25
	v_fma_f16 v9, v10, v17, -v31
	v_fmac_f16_e32 v32, v10, v22
	;; [unrolled: 2-line block ×3, first 2 shown]
	v_fma_f16 v11, v12, v19, -v35
	v_fma_f16 v17, v14, v23, -v39
	v_fmac_f16_e32 v40, v14, v26
	v_fmac_f16_e32 v36, v12, v28
	v_fma_f16 v12, v13, v20, -v37
	v_fmac_f16_e32 v38, v13, v29
	v_add_f16_e32 v13, v16, v17
	v_add_f16_e32 v14, v30, v40
	v_sub_f16_e32 v16, v16, v17
	v_add_f16_e32 v18, v9, v12
	v_add_f16_e32 v19, v32, v38
	v_sub_f16_e32 v17, v30, v40
	v_sub_f16_e32 v9, v9, v12
	;; [unrolled: 1-line block ×3, first 2 shown]
	v_add_f16_e32 v20, v10, v11
	v_add_f16_e32 v21, v34, v36
	v_sub_f16_e32 v10, v11, v10
	v_sub_f16_e32 v11, v36, v34
	v_add_f16_e32 v22, v18, v13
	v_add_f16_e32 v23, v19, v14
	v_sub_f16_e32 v25, v18, v13
	v_sub_f16_e32 v26, v19, v14
	v_sub_f16_e32 v13, v13, v20
	v_sub_f16_e32 v14, v14, v21
	v_sub_f16_e32 v18, v20, v18
	v_sub_f16_e32 v19, v21, v19
	v_add_f16_e32 v27, v10, v9
	v_add_f16_e32 v28, v11, v12
	v_sub_f16_e32 v29, v10, v9
	v_sub_f16_e32 v30, v11, v12
	;; [unrolled: 1-line block ×4, first 2 shown]
	v_add_f16_e32 v20, v20, v22
	v_add_f16_e32 v21, v21, v23
	v_sub_f16_e32 v10, v16, v10
	v_sub_f16_e32 v11, v17, v11
	v_add_f16_e32 v16, v27, v16
	v_add_f16_e32 v17, v28, v17
	v_mul_f16_e32 v13, 0x3a52, v13
	v_mul_f16_e32 v14, 0x3a52, v14
	;; [unrolled: 1-line block ×8, first 2 shown]
	v_add_f16_e32 v31, v20, v15
	v_add_f16_sdwa v15, v21, v15 dst_sel:DWORD dst_unused:UNUSED_PAD src0_sel:DWORD src1_sel:WORD_1
	v_fmamk_f16 v18, v18, 0x2b26, v13
	v_fmamk_f16 v19, v19, 0x2b26, v14
	v_fma_f16 v22, v25, 0x39e0, -v22
	v_fma_f16 v23, v26, 0x39e0, -v23
	v_fma_f16 v13, v25, 0xb9e0, -v13
	v_fma_f16 v14, v26, 0xb9e0, -v14
	v_fmamk_f16 v25, v10, 0x3574, v27
	v_fmamk_f16 v26, v11, 0x3574, v28
	v_fma_f16 v9, v9, 0x3b00, -v27
	v_fma_f16 v12, v12, 0x3b00, -v28
	v_fma_f16 v10, v10, 0xb574, -v29
	v_fma_f16 v11, v11, 0xb574, -v30
	v_fmamk_f16 v20, v20, 0xbcab, v31
	v_fmamk_f16 v21, v21, 0xbcab, v15
	v_fmac_f16_e32 v25, 0x370e, v16
	v_fmac_f16_e32 v26, 0x370e, v17
	;; [unrolled: 1-line block ×6, first 2 shown]
	v_add_f16_e32 v16, v18, v20
	v_add_f16_e32 v17, v19, v21
	;; [unrolled: 1-line block ×7, first 2 shown]
	v_sub_f16_e32 v21, v17, v25
	v_add_f16_e32 v22, v11, v13
	v_sub_f16_e32 v23, v14, v10
	v_sub_f16_e32 v27, v18, v12
	v_add_f16_e32 v28, v9, v19
	v_add_f16_e32 v12, v12, v18
	v_sub_f16_e32 v9, v19, v9
	v_sub_f16_e32 v11, v13, v11
	v_add_f16_e32 v10, v10, v14
	v_sub_f16_e32 v13, v16, v26
	v_add_f16_e32 v14, v25, v17
	v_pack_b32_f16 v15, v31, v15
	v_pack_b32_f16 v16, v20, v21
	;; [unrolled: 1-line block ×7, first 2 shown]
	ds_write2_b32 v8, v15, v16 offset1:30
	ds_write2_b32 v8, v17, v18 offset0:60 offset1:90
	ds_write2_b32 v8, v9, v10 offset0:120 offset1:150
	ds_write_b32 v8, v11 offset:720
	s_waitcnt lgkmcnt(0)
	s_barrier
	buffer_gl0_inv
	s_clause 0x1
	global_load_dwordx4 v[8:11], v24, s[12:13] offset:832
	global_load_dwordx2 v[12:13], v24, s[12:13] offset:848
	ds_read2_b32 v[14:15], v0 offset1:210
	ds_read2_b32 v[16:17], v6 offset0:36 offset1:246
	ds_read2_b32 v[18:19], v7 offset0:8 offset1:218
	ds_read_b32 v20, v0 offset:5040
	s_waitcnt vmcnt(0) lgkmcnt(0)
	s_barrier
	buffer_gl0_inv
	v_lshrrev_b32_e32 v21, 16, v15
	v_lshrrev_b32_e32 v22, 16, v16
	;; [unrolled: 1-line block ×6, first 2 shown]
	v_mul_f16_sdwa v27, v8, v21 dst_sel:DWORD dst_unused:UNUSED_PAD src0_sel:WORD_1 src1_sel:DWORD
	v_mul_f16_sdwa v28, v8, v15 dst_sel:DWORD dst_unused:UNUSED_PAD src0_sel:WORD_1 src1_sel:DWORD
	;; [unrolled: 1-line block ×12, first 2 shown]
	v_fma_f16 v15, v8, v15, -v27
	v_fmac_f16_e32 v28, v8, v21
	v_fma_f16 v8, v9, v16, -v29
	v_fmac_f16_e32 v30, v9, v22
	;; [unrolled: 2-line block ×3, first 2 shown]
	v_fma_f16 v10, v11, v18, -v33
	v_fma_f16 v16, v13, v20, -v37
	v_fmac_f16_e32 v38, v13, v26
	v_fmac_f16_e32 v34, v11, v24
	v_fma_f16 v11, v12, v19, -v35
	v_fmac_f16_e32 v36, v12, v25
	v_add_f16_e32 v12, v15, v16
	v_add_f16_e32 v13, v28, v38
	v_sub_f16_e32 v15, v15, v16
	v_add_f16_e32 v17, v8, v11
	v_add_f16_e32 v18, v30, v36
	v_sub_f16_e32 v16, v28, v38
	v_sub_f16_e32 v8, v8, v11
	v_sub_f16_e32 v11, v30, v36
	v_add_f16_e32 v19, v9, v10
	v_add_f16_e32 v20, v32, v34
	v_sub_f16_e32 v9, v10, v9
	v_sub_f16_e32 v10, v34, v32
	v_add_f16_e32 v21, v17, v12
	v_add_f16_e32 v22, v18, v13
	v_sub_f16_e32 v23, v17, v12
	v_sub_f16_e32 v24, v18, v13
	;; [unrolled: 1-line block ×6, first 2 shown]
	v_add_f16_e32 v25, v9, v8
	v_add_f16_e32 v26, v10, v11
	v_sub_f16_e32 v27, v9, v8
	v_sub_f16_e32 v28, v10, v11
	;; [unrolled: 1-line block ×4, first 2 shown]
	v_add_f16_e32 v19, v19, v21
	v_add_f16_e32 v20, v20, v22
	v_sub_f16_e32 v9, v15, v9
	v_sub_f16_e32 v10, v16, v10
	v_add_f16_e32 v15, v25, v15
	v_add_f16_e32 v16, v26, v16
	v_mul_f16_e32 v12, 0x3a52, v12
	v_mul_f16_e32 v13, 0x3a52, v13
	;; [unrolled: 1-line block ×8, first 2 shown]
	v_add_f16_e32 v29, v19, v14
	v_add_f16_sdwa v14, v20, v14 dst_sel:DWORD dst_unused:UNUSED_PAD src0_sel:DWORD src1_sel:WORD_1
	v_fmamk_f16 v17, v17, 0x2b26, v12
	v_fmamk_f16 v18, v18, 0x2b26, v13
	v_fma_f16 v21, v23, 0x39e0, -v21
	v_fma_f16 v22, v24, 0x39e0, -v22
	;; [unrolled: 1-line block ×4, first 2 shown]
	v_fmamk_f16 v23, v9, 0x3574, v25
	v_fmamk_f16 v24, v10, 0x3574, v26
	v_fma_f16 v8, v8, 0x3b00, -v25
	v_fma_f16 v11, v11, 0x3b00, -v26
	;; [unrolled: 1-line block ×4, first 2 shown]
	v_fmamk_f16 v19, v19, 0xbcab, v29
	v_fmamk_f16 v20, v20, 0xbcab, v14
	v_fmac_f16_e32 v23, 0x370e, v15
	v_fmac_f16_e32 v24, 0x370e, v16
	;; [unrolled: 1-line block ×6, first 2 shown]
	v_add_f16_e32 v15, v17, v19
	v_add_f16_e32 v16, v18, v20
	;; [unrolled: 1-line block ×7, first 2 shown]
	v_sub_f16_e32 v20, v16, v23
	v_add_f16_e32 v21, v10, v12
	v_sub_f16_e32 v22, v13, v9
	v_sub_f16_e32 v25, v17, v11
	v_add_f16_e32 v26, v8, v18
	v_add_f16_e32 v11, v11, v17
	v_sub_f16_e32 v8, v18, v8
	v_sub_f16_e32 v10, v12, v10
	v_add_f16_e32 v9, v9, v13
	v_sub_f16_e32 v12, v15, v24
	v_add_f16_e32 v13, v23, v16
	v_pack_b32_f16 v14, v29, v14
	v_pack_b32_f16 v15, v19, v20
	;; [unrolled: 1-line block ×7, first 2 shown]
	ds_write2_b32 v0, v14, v15 offset1:210
	ds_write2_b32 v6, v16, v17 offset0:36 offset1:246
	ds_write2_b32 v7, v8, v9 offset0:8 offset1:218
	ds_write_b32 v0, v10 offset:5040
	s_waitcnt lgkmcnt(0)
	s_barrier
	buffer_gl0_inv
	s_and_saveexec_b32 s0, vcc_lo
	s_cbranch_execz .LBB0_33
; %bb.32:
	v_mul_lo_u32 v0, s3, v3
	v_mul_lo_u32 v6, s2, v4
	v_mad_u64_u32 v[3:4], null, s2, v3, 0
	v_lshl_add_u32 v15, v5, 2, 0
	v_add_nc_u32_e32 v7, 0xd2, v5
	v_add_nc_u32_e32 v9, 0x1a4, v5
	ds_read2_b32 v[11:12], v15 offset1:210
	v_add3_u32 v4, v4, v6, v0
	v_lshlrev_b64 v[0:1], 2, v[1:2]
	v_mov_b32_e32 v6, 0
	v_lshlrev_b64 v[2:3], 2, v[3:4]
	v_add_nc_u32_e32 v4, 0x600, v15
	v_mov_b32_e32 v8, v6
	v_lshlrev_b64 v[13:14], 2, v[5:6]
	v_mov_b32_e32 v10, v6
	v_add_co_u32 v2, vcc_lo, s10, v2
	v_add_co_ci_u32_e32 v3, vcc_lo, s11, v3, vcc_lo
	v_add_co_u32 v16, vcc_lo, v2, v0
	v_add_co_ci_u32_e32 v17, vcc_lo, v3, v1, vcc_lo
	v_lshlrev_b64 v[0:1], 2, v[7:8]
	v_add_co_u32 v2, vcc_lo, v16, v13
	v_add_co_ci_u32_e32 v3, vcc_lo, v17, v14, vcc_lo
	v_add_nc_u32_e32 v7, 0x276, v5
	v_add_co_u32 v0, vcc_lo, v16, v0
	v_add_co_ci_u32_e32 v1, vcc_lo, v17, v1, vcc_lo
	s_waitcnt lgkmcnt(0)
	global_store_dword v[2:3], v11, off
	global_store_dword v[0:1], v12, off
	ds_read2_b32 v[0:1], v4 offset0:36 offset1:246
	v_add_nc_u32_e32 v4, 0xd00, v15
	v_lshlrev_b64 v[2:3], 2, v[9:10]
	v_add_nc_u32_e32 v9, 0x348, v5
	v_lshlrev_b64 v[7:8], 2, v[7:8]
	v_add_nc_u32_e32 v13, 0x41a, v5
	ds_read2_b32 v[11:12], v4 offset0:8 offset1:218
	v_mov_b32_e32 v14, v6
	ds_read_b32 v15, v15 offset:5040
	v_add_co_u32 v2, vcc_lo, v16, v2
	v_lshlrev_b64 v[9:10], 2, v[9:10]
	v_add_nc_u32_e32 v5, 0x4ec, v5
	v_add_co_ci_u32_e32 v3, vcc_lo, v17, v3, vcc_lo
	v_add_co_u32 v7, vcc_lo, v16, v7
	v_lshlrev_b64 v[13:14], 2, v[13:14]
	v_add_co_ci_u32_e32 v8, vcc_lo, v17, v8, vcc_lo
	v_add_co_u32 v9, vcc_lo, v16, v9
	v_lshlrev_b64 v[4:5], 2, v[5:6]
	v_add_co_ci_u32_e32 v10, vcc_lo, v17, v10, vcc_lo
	v_add_co_u32 v13, vcc_lo, v16, v13
	v_add_co_ci_u32_e32 v14, vcc_lo, v17, v14, vcc_lo
	v_add_co_u32 v4, vcc_lo, v16, v4
	v_add_co_ci_u32_e32 v5, vcc_lo, v17, v5, vcc_lo
	s_waitcnt lgkmcnt(2)
	global_store_dword v[2:3], v0, off
	global_store_dword v[7:8], v1, off
	s_waitcnt lgkmcnt(1)
	global_store_dword v[9:10], v11, off
	global_store_dword v[13:14], v12, off
	s_waitcnt lgkmcnt(0)
	global_store_dword v[4:5], v15, off
.LBB0_33:
	s_endpgm
	.section	.rodata,"a",@progbits
	.p2align	6, 0x0
	.amdhsa_kernel fft_rtc_fwd_len1470_factors_2_3_5_7_7_wgs_210_tpt_210_halfLds_half_op_CI_CI_unitstride_sbrr_C2R_dirReg
		.amdhsa_group_segment_fixed_size 0
		.amdhsa_private_segment_fixed_size 0
		.amdhsa_kernarg_size 104
		.amdhsa_user_sgpr_count 6
		.amdhsa_user_sgpr_private_segment_buffer 1
		.amdhsa_user_sgpr_dispatch_ptr 0
		.amdhsa_user_sgpr_queue_ptr 0
		.amdhsa_user_sgpr_kernarg_segment_ptr 1
		.amdhsa_user_sgpr_dispatch_id 0
		.amdhsa_user_sgpr_flat_scratch_init 0
		.amdhsa_user_sgpr_private_segment_size 0
		.amdhsa_wavefront_size32 1
		.amdhsa_uses_dynamic_stack 0
		.amdhsa_system_sgpr_private_segment_wavefront_offset 0
		.amdhsa_system_sgpr_workgroup_id_x 1
		.amdhsa_system_sgpr_workgroup_id_y 0
		.amdhsa_system_sgpr_workgroup_id_z 0
		.amdhsa_system_sgpr_workgroup_info 0
		.amdhsa_system_vgpr_workitem_id 0
		.amdhsa_next_free_vgpr 47
		.amdhsa_next_free_sgpr 27
		.amdhsa_reserve_vcc 1
		.amdhsa_reserve_flat_scratch 0
		.amdhsa_float_round_mode_32 0
		.amdhsa_float_round_mode_16_64 0
		.amdhsa_float_denorm_mode_32 3
		.amdhsa_float_denorm_mode_16_64 3
		.amdhsa_dx10_clamp 1
		.amdhsa_ieee_mode 1
		.amdhsa_fp16_overflow 0
		.amdhsa_workgroup_processor_mode 1
		.amdhsa_memory_ordered 1
		.amdhsa_forward_progress 0
		.amdhsa_shared_vgpr_count 0
		.amdhsa_exception_fp_ieee_invalid_op 0
		.amdhsa_exception_fp_denorm_src 0
		.amdhsa_exception_fp_ieee_div_zero 0
		.amdhsa_exception_fp_ieee_overflow 0
		.amdhsa_exception_fp_ieee_underflow 0
		.amdhsa_exception_fp_ieee_inexact 0
		.amdhsa_exception_int_div_zero 0
	.end_amdhsa_kernel
	.text
.Lfunc_end0:
	.size	fft_rtc_fwd_len1470_factors_2_3_5_7_7_wgs_210_tpt_210_halfLds_half_op_CI_CI_unitstride_sbrr_C2R_dirReg, .Lfunc_end0-fft_rtc_fwd_len1470_factors_2_3_5_7_7_wgs_210_tpt_210_halfLds_half_op_CI_CI_unitstride_sbrr_C2R_dirReg
                                        ; -- End function
	.section	.AMDGPU.csdata,"",@progbits
; Kernel info:
; codeLenInByte = 7080
; NumSgprs: 29
; NumVgprs: 47
; ScratchSize: 0
; MemoryBound: 0
; FloatMode: 240
; IeeeMode: 1
; LDSByteSize: 0 bytes/workgroup (compile time only)
; SGPRBlocks: 3
; VGPRBlocks: 5
; NumSGPRsForWavesPerEU: 29
; NumVGPRsForWavesPerEU: 47
; Occupancy: 16
; WaveLimiterHint : 1
; COMPUTE_PGM_RSRC2:SCRATCH_EN: 0
; COMPUTE_PGM_RSRC2:USER_SGPR: 6
; COMPUTE_PGM_RSRC2:TRAP_HANDLER: 0
; COMPUTE_PGM_RSRC2:TGID_X_EN: 1
; COMPUTE_PGM_RSRC2:TGID_Y_EN: 0
; COMPUTE_PGM_RSRC2:TGID_Z_EN: 0
; COMPUTE_PGM_RSRC2:TIDIG_COMP_CNT: 0
	.text
	.p2alignl 6, 3214868480
	.fill 48, 4, 3214868480
	.type	__hip_cuid_f3364126d408f956,@object ; @__hip_cuid_f3364126d408f956
	.section	.bss,"aw",@nobits
	.globl	__hip_cuid_f3364126d408f956
__hip_cuid_f3364126d408f956:
	.byte	0                               ; 0x0
	.size	__hip_cuid_f3364126d408f956, 1

	.ident	"AMD clang version 19.0.0git (https://github.com/RadeonOpenCompute/llvm-project roc-6.4.0 25133 c7fe45cf4b819c5991fe208aaa96edf142730f1d)"
	.section	".note.GNU-stack","",@progbits
	.addrsig
	.addrsig_sym __hip_cuid_f3364126d408f956
	.amdgpu_metadata
---
amdhsa.kernels:
  - .args:
      - .actual_access:  read_only
        .address_space:  global
        .offset:         0
        .size:           8
        .value_kind:     global_buffer
      - .offset:         8
        .size:           8
        .value_kind:     by_value
      - .actual_access:  read_only
        .address_space:  global
        .offset:         16
        .size:           8
        .value_kind:     global_buffer
      - .actual_access:  read_only
        .address_space:  global
        .offset:         24
        .size:           8
        .value_kind:     global_buffer
      - .actual_access:  read_only
        .address_space:  global
        .offset:         32
        .size:           8
        .value_kind:     global_buffer
      - .offset:         40
        .size:           8
        .value_kind:     by_value
      - .actual_access:  read_only
        .address_space:  global
        .offset:         48
        .size:           8
        .value_kind:     global_buffer
      - .actual_access:  read_only
        .address_space:  global
        .offset:         56
        .size:           8
        .value_kind:     global_buffer
      - .offset:         64
        .size:           4
        .value_kind:     by_value
      - .actual_access:  read_only
        .address_space:  global
        .offset:         72
        .size:           8
        .value_kind:     global_buffer
      - .actual_access:  read_only
        .address_space:  global
        .offset:         80
        .size:           8
        .value_kind:     global_buffer
      - .actual_access:  read_only
        .address_space:  global
        .offset:         88
        .size:           8
        .value_kind:     global_buffer
      - .actual_access:  write_only
        .address_space:  global
        .offset:         96
        .size:           8
        .value_kind:     global_buffer
    .group_segment_fixed_size: 0
    .kernarg_segment_align: 8
    .kernarg_segment_size: 104
    .language:       OpenCL C
    .language_version:
      - 2
      - 0
    .max_flat_workgroup_size: 210
    .name:           fft_rtc_fwd_len1470_factors_2_3_5_7_7_wgs_210_tpt_210_halfLds_half_op_CI_CI_unitstride_sbrr_C2R_dirReg
    .private_segment_fixed_size: 0
    .sgpr_count:     29
    .sgpr_spill_count: 0
    .symbol:         fft_rtc_fwd_len1470_factors_2_3_5_7_7_wgs_210_tpt_210_halfLds_half_op_CI_CI_unitstride_sbrr_C2R_dirReg.kd
    .uniform_work_group_size: 1
    .uses_dynamic_stack: false
    .vgpr_count:     47
    .vgpr_spill_count: 0
    .wavefront_size: 32
    .workgroup_processor_mode: 1
amdhsa.target:   amdgcn-amd-amdhsa--gfx1030
amdhsa.version:
  - 1
  - 2
...

	.end_amdgpu_metadata
